;; amdgpu-corpus repo=ROCm/rocFFT kind=compiled arch=gfx1030 opt=O3
	.text
	.amdgcn_target "amdgcn-amd-amdhsa--gfx1030"
	.amdhsa_code_object_version 6
	.protected	fft_rtc_fwd_len352_factors_11_2_16_wgs_64_tpt_32_half_op_CI_CI_unitstride_sbrr_R2C_dirReg ; -- Begin function fft_rtc_fwd_len352_factors_11_2_16_wgs_64_tpt_32_half_op_CI_CI_unitstride_sbrr_R2C_dirReg
	.globl	fft_rtc_fwd_len352_factors_11_2_16_wgs_64_tpt_32_half_op_CI_CI_unitstride_sbrr_R2C_dirReg
	.p2align	8
	.type	fft_rtc_fwd_len352_factors_11_2_16_wgs_64_tpt_32_half_op_CI_CI_unitstride_sbrr_R2C_dirReg,@function
fft_rtc_fwd_len352_factors_11_2_16_wgs_64_tpt_32_half_op_CI_CI_unitstride_sbrr_R2C_dirReg: ; @fft_rtc_fwd_len352_factors_11_2_16_wgs_64_tpt_32_half_op_CI_CI_unitstride_sbrr_R2C_dirReg
; %bb.0:
	s_clause 0x2
	s_load_dwordx4 s[12:15], s[4:5], 0x0
	s_load_dwordx4 s[8:11], s[4:5], 0x58
	;; [unrolled: 1-line block ×3, first 2 shown]
	v_lshrrev_b32_e32 v1, 5, v0
	v_mov_b32_e32 v3, 0
	v_mov_b32_e32 v13, 0
	;; [unrolled: 1-line block ×3, first 2 shown]
	v_lshl_or_b32 v7, s6, 1, v1
	v_mov_b32_e32 v8, v3
	s_waitcnt lgkmcnt(0)
	v_cmp_lt_u64_e64 s0, s[14:15], 2
	s_and_b32 vcc_lo, exec_lo, s0
	s_cbranch_vccnz .LBB0_8
; %bb.1:
	s_load_dwordx2 s[0:1], s[4:5], 0x10
	v_mov_b32_e32 v13, 0
	v_mov_b32_e32 v14, 0
	s_add_u32 s2, s18, 8
	s_addc_u32 s3, s19, 0
	v_mov_b32_e32 v1, v13
	s_add_u32 s6, s16, 8
	v_mov_b32_e32 v2, v14
	s_addc_u32 s7, s17, 0
	s_mov_b64 s[22:23], 1
	s_waitcnt lgkmcnt(0)
	s_add_u32 s20, s0, 8
	s_addc_u32 s21, s1, 0
.LBB0_2:                                ; =>This Inner Loop Header: Depth=1
	s_load_dwordx2 s[24:25], s[20:21], 0x0
                                        ; implicit-def: $vgpr5_vgpr6
	s_mov_b32 s0, exec_lo
	s_waitcnt lgkmcnt(0)
	v_or_b32_e32 v4, s25, v8
	v_cmpx_ne_u64_e32 0, v[3:4]
	s_xor_b32 s1, exec_lo, s0
	s_cbranch_execz .LBB0_4
; %bb.3:                                ;   in Loop: Header=BB0_2 Depth=1
	v_cvt_f32_u32_e32 v4, s24
	v_cvt_f32_u32_e32 v5, s25
	s_sub_u32 s0, 0, s24
	s_subb_u32 s26, 0, s25
	v_fmac_f32_e32 v4, 0x4f800000, v5
	v_rcp_f32_e32 v4, v4
	v_mul_f32_e32 v4, 0x5f7ffffc, v4
	v_mul_f32_e32 v5, 0x2f800000, v4
	v_trunc_f32_e32 v5, v5
	v_fmac_f32_e32 v4, 0xcf800000, v5
	v_cvt_u32_f32_e32 v5, v5
	v_cvt_u32_f32_e32 v4, v4
	v_mul_lo_u32 v6, s0, v5
	v_mul_hi_u32 v9, s0, v4
	v_mul_lo_u32 v10, s26, v4
	v_add_nc_u32_e32 v6, v9, v6
	v_mul_lo_u32 v9, s0, v4
	v_add_nc_u32_e32 v6, v6, v10
	v_mul_hi_u32 v10, v4, v9
	v_mul_lo_u32 v11, v4, v6
	v_mul_hi_u32 v12, v4, v6
	v_mul_hi_u32 v15, v5, v9
	v_mul_lo_u32 v9, v5, v9
	v_mul_hi_u32 v16, v5, v6
	v_mul_lo_u32 v6, v5, v6
	v_add_co_u32 v10, vcc_lo, v10, v11
	v_add_co_ci_u32_e32 v11, vcc_lo, 0, v12, vcc_lo
	v_add_co_u32 v9, vcc_lo, v10, v9
	v_add_co_ci_u32_e32 v9, vcc_lo, v11, v15, vcc_lo
	v_add_co_ci_u32_e32 v10, vcc_lo, 0, v16, vcc_lo
	v_add_co_u32 v6, vcc_lo, v9, v6
	v_add_co_ci_u32_e32 v9, vcc_lo, 0, v10, vcc_lo
	v_add_co_u32 v4, vcc_lo, v4, v6
	v_add_co_ci_u32_e32 v5, vcc_lo, v5, v9, vcc_lo
	v_mul_hi_u32 v6, s0, v4
	v_mul_lo_u32 v10, s26, v4
	v_mul_lo_u32 v9, s0, v5
	v_add_nc_u32_e32 v6, v6, v9
	v_mul_lo_u32 v9, s0, v4
	v_add_nc_u32_e32 v6, v6, v10
	v_mul_hi_u32 v10, v4, v9
	v_mul_lo_u32 v11, v4, v6
	v_mul_hi_u32 v12, v4, v6
	v_mul_hi_u32 v15, v5, v9
	v_mul_lo_u32 v9, v5, v9
	v_mul_hi_u32 v16, v5, v6
	v_mul_lo_u32 v6, v5, v6
	v_add_co_u32 v10, vcc_lo, v10, v11
	v_add_co_ci_u32_e32 v11, vcc_lo, 0, v12, vcc_lo
	v_add_co_u32 v9, vcc_lo, v10, v9
	v_add_co_ci_u32_e32 v9, vcc_lo, v11, v15, vcc_lo
	v_add_co_ci_u32_e32 v10, vcc_lo, 0, v16, vcc_lo
	v_add_co_u32 v6, vcc_lo, v9, v6
	v_add_co_ci_u32_e32 v9, vcc_lo, 0, v10, vcc_lo
	v_add_co_u32 v6, vcc_lo, v4, v6
	v_add_co_ci_u32_e32 v11, vcc_lo, v5, v9, vcc_lo
	v_mul_hi_u32 v15, v7, v6
	v_mad_u64_u32 v[9:10], null, v8, v6, 0
	v_mad_u64_u32 v[4:5], null, v7, v11, 0
	;; [unrolled: 1-line block ×3, first 2 shown]
	v_add_co_u32 v4, vcc_lo, v15, v4
	v_add_co_ci_u32_e32 v5, vcc_lo, 0, v5, vcc_lo
	v_add_co_u32 v4, vcc_lo, v4, v9
	v_add_co_ci_u32_e32 v4, vcc_lo, v5, v10, vcc_lo
	v_add_co_ci_u32_e32 v5, vcc_lo, 0, v12, vcc_lo
	v_add_co_u32 v9, vcc_lo, v4, v11
	v_add_co_ci_u32_e32 v6, vcc_lo, 0, v5, vcc_lo
	v_mul_lo_u32 v10, s25, v9
	v_mad_u64_u32 v[4:5], null, s24, v9, 0
	v_mul_lo_u32 v11, s24, v6
	v_sub_co_u32 v4, vcc_lo, v7, v4
	v_add3_u32 v5, v5, v11, v10
	v_sub_nc_u32_e32 v10, v8, v5
	v_subrev_co_ci_u32_e64 v10, s0, s25, v10, vcc_lo
	v_add_co_u32 v11, s0, v9, 2
	v_add_co_ci_u32_e64 v12, s0, 0, v6, s0
	v_sub_co_u32 v15, s0, v4, s24
	v_sub_co_ci_u32_e32 v5, vcc_lo, v8, v5, vcc_lo
	v_subrev_co_ci_u32_e64 v10, s0, 0, v10, s0
	v_cmp_le_u32_e32 vcc_lo, s24, v15
	v_cmp_eq_u32_e64 s0, s25, v5
	v_cndmask_b32_e64 v15, 0, -1, vcc_lo
	v_cmp_le_u32_e32 vcc_lo, s25, v10
	v_cndmask_b32_e64 v16, 0, -1, vcc_lo
	v_cmp_le_u32_e32 vcc_lo, s24, v4
	;; [unrolled: 2-line block ×3, first 2 shown]
	v_cndmask_b32_e64 v17, 0, -1, vcc_lo
	v_cmp_eq_u32_e32 vcc_lo, s25, v10
	v_cndmask_b32_e64 v4, v17, v4, s0
	v_cndmask_b32_e32 v10, v16, v15, vcc_lo
	v_add_co_u32 v15, vcc_lo, v9, 1
	v_add_co_ci_u32_e32 v16, vcc_lo, 0, v6, vcc_lo
	v_cmp_ne_u32_e32 vcc_lo, 0, v10
	v_cndmask_b32_e32 v5, v16, v12, vcc_lo
	v_cndmask_b32_e32 v10, v15, v11, vcc_lo
	v_cmp_ne_u32_e32 vcc_lo, 0, v4
	v_cndmask_b32_e32 v6, v6, v5, vcc_lo
	v_cndmask_b32_e32 v5, v9, v10, vcc_lo
.LBB0_4:                                ;   in Loop: Header=BB0_2 Depth=1
	s_andn2_saveexec_b32 s0, s1
	s_cbranch_execz .LBB0_6
; %bb.5:                                ;   in Loop: Header=BB0_2 Depth=1
	v_cvt_f32_u32_e32 v4, s24
	s_sub_i32 s1, 0, s24
	v_rcp_iflag_f32_e32 v4, v4
	v_mul_f32_e32 v4, 0x4f7ffffe, v4
	v_cvt_u32_f32_e32 v4, v4
	v_mul_lo_u32 v5, s1, v4
	v_mul_hi_u32 v5, v4, v5
	v_add_nc_u32_e32 v4, v4, v5
	v_mul_hi_u32 v4, v7, v4
	v_mul_lo_u32 v5, v4, s24
	v_add_nc_u32_e32 v6, 1, v4
	v_sub_nc_u32_e32 v5, v7, v5
	v_subrev_nc_u32_e32 v9, s24, v5
	v_cmp_le_u32_e32 vcc_lo, s24, v5
	v_cndmask_b32_e32 v5, v5, v9, vcc_lo
	v_cndmask_b32_e32 v4, v4, v6, vcc_lo
	v_cmp_le_u32_e32 vcc_lo, s24, v5
	v_add_nc_u32_e32 v6, 1, v4
	v_cndmask_b32_e32 v5, v4, v6, vcc_lo
	v_mov_b32_e32 v6, v3
.LBB0_6:                                ;   in Loop: Header=BB0_2 Depth=1
	s_or_b32 exec_lo, exec_lo, s0
	v_mul_lo_u32 v4, v6, s24
	v_mul_lo_u32 v11, v5, s25
	s_load_dwordx2 s[0:1], s[6:7], 0x0
	v_mad_u64_u32 v[9:10], null, v5, s24, 0
	s_load_dwordx2 s[24:25], s[2:3], 0x0
	s_add_u32 s22, s22, 1
	s_addc_u32 s23, s23, 0
	s_add_u32 s2, s2, 8
	s_addc_u32 s3, s3, 0
	s_add_u32 s6, s6, 8
	v_add3_u32 v4, v10, v11, v4
	v_sub_co_u32 v7, vcc_lo, v7, v9
	s_addc_u32 s7, s7, 0
	s_add_u32 s20, s20, 8
	v_sub_co_ci_u32_e32 v4, vcc_lo, v8, v4, vcc_lo
	s_addc_u32 s21, s21, 0
	s_waitcnt lgkmcnt(0)
	v_mul_lo_u32 v8, s0, v4
	v_mul_lo_u32 v9, s1, v7
	v_mad_u64_u32 v[13:14], null, s0, v7, v[13:14]
	v_mul_lo_u32 v4, s24, v4
	v_mul_lo_u32 v10, s25, v7
	v_mad_u64_u32 v[1:2], null, s24, v7, v[1:2]
	v_cmp_ge_u64_e64 s0, s[22:23], s[14:15]
	v_add3_u32 v14, v9, v14, v8
	v_add3_u32 v2, v10, v2, v4
	s_and_b32 vcc_lo, exec_lo, s0
	s_cbranch_vccnz .LBB0_9
; %bb.7:                                ;   in Loop: Header=BB0_2 Depth=1
	v_mov_b32_e32 v8, v6
	v_mov_b32_e32 v7, v5
	s_branch .LBB0_2
.LBB0_8:
	v_mov_b32_e32 v1, v13
	v_mov_b32_e32 v5, v7
	;; [unrolled: 1-line block ×4, first 2 shown]
.LBB0_9:
	s_load_dwordx2 s[2:3], s[4:5], 0x28
	v_and_b32_e32 v3, 32, v0
	s_lshl_b64 s[4:5], s[14:15], 3
                                        ; implicit-def: $vgpr7
                                        ; implicit-def: $vgpr12
                                        ; implicit-def: $vgpr11
                                        ; implicit-def: $vgpr10
                                        ; implicit-def: $vgpr9
	v_cmp_ne_u32_e64 s0, 0, v3
	v_and_b32_e32 v3, 31, v0
	s_waitcnt lgkmcnt(0)
	v_cmp_gt_u64_e32 vcc_lo, s[2:3], v[5:6]
	v_cmp_le_u64_e64 s1, s[2:3], v[5:6]
	s_add_u32 s2, s18, s4
	s_addc_u32 s3, s19, s5
	s_and_saveexec_b32 s6, s1
	s_xor_b32 s1, exec_lo, s6
; %bb.10:
	v_and_b32_e32 v3, 31, v0
                                        ; implicit-def: $vgpr13_vgpr14
	v_or_b32_e32 v7, 32, v3
	v_or_b32_e32 v12, 64, v3
	;; [unrolled: 1-line block ×5, first 2 shown]
; %bb.11:
	s_or_saveexec_b32 s1, s1
	v_cndmask_b32_e64 v0, 0, 0x161, s0
	v_lshlrev_b32_e32 v25, 2, v0
	s_xor_b32 exec_lo, exec_lo, s1
	s_cbranch_execz .LBB0_13
; %bb.12:
	s_add_u32 s4, s16, s4
	s_addc_u32 s5, s17, s5
	v_lshlrev_b64 v[9:10], 2, v[13:14]
	s_load_dwordx2 s[4:5], s[4:5], 0x0
	v_lshlrev_b32_e32 v11, 2, v3
	v_or_b32_e32 v12, 64, v3
	v_add3_u32 v21, 0, v25, v11
	v_add_nc_u32_e32 v22, 0x400, v21
	s_waitcnt lgkmcnt(0)
	v_mul_lo_u32 v0, s5, v5
	v_mul_lo_u32 v4, s4, v6
	v_mad_u64_u32 v[7:8], null, s4, v5, 0
	v_add3_u32 v8, v8, v4, v0
	v_lshlrev_b64 v[7:8], 2, v[7:8]
	v_add_co_u32 v0, s0, s8, v7
	v_add_co_ci_u32_e64 v4, s0, s9, v8, s0
	v_add_co_u32 v0, s0, v0, v9
	v_add_co_ci_u32_e64 v4, s0, v4, v10, s0
	v_or_b32_e32 v10, 0x80, v3
	v_add_co_u32 v7, s0, v0, v11
	v_add_co_ci_u32_e64 v8, s0, 0, v4, s0
	v_or_b32_e32 v11, 0x60, v3
	s_clause 0xa
	global_load_dword v0, v[7:8], off
	global_load_dword v4, v[7:8], off offset:128
	global_load_dword v13, v[7:8], off offset:256
	;; [unrolled: 1-line block ×10, first 2 shown]
	v_or_b32_e32 v7, 32, v3
	v_or_b32_e32 v9, 0xa0, v3
	s_waitcnt vmcnt(9)
	ds_write2_b32 v21, v0, v4 offset1:32
	s_waitcnt vmcnt(7)
	ds_write2_b32 v21, v13, v14 offset0:64 offset1:96
	s_waitcnt vmcnt(5)
	ds_write2_b32 v21, v15, v16 offset0:128 offset1:160
	;; [unrolled: 2-line block ×3, first 2 shown]
	s_waitcnt vmcnt(1)
	ds_write2_b32 v22, v19, v20 offset1:32
	s_waitcnt vmcnt(0)
	ds_write_b32 v21, v8 offset:1280
.LBB0_13:
	s_or_b32 exec_lo, exec_lo, s1
	v_add_nc_u32_e32 v0, 0, v25
	v_lshlrev_b32_e32 v4, 2, v3
	s_load_dwordx2 s[2:3], s[2:3], 0x0
	s_waitcnt lgkmcnt(0)
	s_barrier
	buffer_gl0_inv
	v_add_nc_u32_e32 v27, v0, v4
	v_add3_u32 v8, 0, v4, v25
	v_mov_b32_e32 v24, 0xb853
	v_mov_b32_e32 v28, 0xba0c
	ds_read_b32 v23, v27
	ds_read2_b32 v[13:14], v8 offset0:32 offset1:64
	v_add_nc_u32_e32 v15, 0x400, v8
	v_add_nc_u32_e32 v32, 0x200, v8
	v_mov_b32_e32 v29, 0xbb47
	ds_read2_b32 v[15:16], v15 offset0:32 offset1:64
	ds_read2_b32 v[17:18], v8 offset0:96 offset1:128
	;; [unrolled: 1-line block ×4, first 2 shown]
	v_mov_b32_e32 v26, 0xbbeb
	v_mov_b32_e32 v55, 0x3482
	v_mad_u32_u24 v30, v3, 40, v8
	s_waitcnt lgkmcnt(0)
	s_barrier
	buffer_gl0_inv
	v_alignbit_b32 v33, s0, v23, 16
	v_pk_add_f16 v31, v23, v13
	v_pk_add_f16 v34, v13, v16 neg_lo:[0,1] neg_hi:[0,1]
	v_pk_add_f16 v31, v31, v14
	v_pk_add_f16 v13, v16, v13
	v_pk_add_f16 v35, v15, v14
	v_pk_add_f16 v14, v14, v15 neg_lo:[0,1] neg_hi:[0,1]
	v_mul_f16_sdwa v36, v34, v24 dst_sel:DWORD dst_unused:UNUSED_PAD src0_sel:WORD_1 src1_sel:DWORD
	v_pk_add_f16 v31, v31, v17
	v_pk_mul_f16 v37, 0x3abb36a6, v13
	v_mul_f16_sdwa v42, v34, v28 dst_sel:DWORD dst_unused:UNUSED_PAD src0_sel:WORD_1 src1_sel:DWORD
	v_lshrrev_b32_e32 v38, 16, v13
	v_mul_f16_e32 v39, 0xbb47, v34
	v_pk_add_f16 v31, v31, v18
	v_mul_f16_e32 v41, 0xbbeb, v34
	v_mul_f16_e32 v43, 0xba0c, v34
	v_pk_mul_f16 v44, 0x36a6b93d, v35
	v_fma_f16 v45, v13, 0x3abb, -v36
	v_pk_add_f16 v31, v31, v19
	v_pk_fma_f16 v46, 0xbb47b853, v34, v37 op_sel:[0,0,1] op_sel_hi:[1,1,0] neg_lo:[0,1,0] neg_hi:[0,1,0]
	v_pk_fma_f16 v37, 0xbb47b853, v34, v37 op_sel:[0,0,1] op_sel_hi:[1,1,0]
	v_fma_f16 v50, v13, 0xb93d, -v42
	v_fmac_f16_e32 v42, 0xb93d, v13
	v_pk_add_f16 v31, v31, v20
	v_fmac_f16_e32 v36, 0x3abb, v13
	v_fmamk_f16 v47, v38, 0x36a6, v39
	v_fma_f16 v39, v38, 0x36a6, -v39
	v_fmamk_f16 v49, v38, 0xb08e, v41
	v_pk_add_f16 v31, v31, v21
	v_fma_f16 v41, v38, 0xb08e, -v41
	v_fmamk_f16 v51, v38, 0xb93d, v43
	v_fma_f16 v38, v38, 0xb93d, -v43
	v_add_f16_e32 v43, v23, v45
	v_pk_add_f16 v31, v31, v22
	v_bfi_b32 v45, 0xffff, v37, v46
	v_mul_f16_sdwa v29, v14, v29 dst_sel:DWORD dst_unused:UNUSED_PAD src0_sel:WORD_1 src1_sel:DWORD
	v_mul_f16_sdwa v40, v34, v26 dst_sel:DWORD dst_unused:UNUSED_PAD src0_sel:WORD_1 src1_sel:DWORD
	v_add_f16_e32 v36, v23, v36
	v_pk_add_f16 v15, v31, v15
	v_pk_add_f16 v45, v23, v45 op_sel:[1,0] op_sel_hi:[0,1]
	v_fma_f16 v53, v35, 0x36a6, -v29
	v_fmac_f16_e32 v29, 0x36a6, v35
	v_fma_f16 v48, v13, 0xb08e, -v40
	v_pk_add_f16 v15, v15, v16
	v_add_f16_e32 v16, v23, v42
	v_pk_fma_f16 v42, 0xba0cbb47, v14, v44 op_sel:[0,0,1] op_sel_hi:[1,1,0] neg_lo:[0,1,0] neg_hi:[0,1,0]
	v_pk_fma_f16 v44, 0xba0cbb47, v14, v44 op_sel:[0,0,1] op_sel_hi:[1,1,0]
	v_fmac_f16_e32 v40, 0xb08e, v13
	v_alignbit_b32 v37, s0, v37, 16
	v_add_f16_e32 v29, v29, v36
	v_add_f16_e32 v31, v23, v50
	v_bfi_b32 v54, 0xffff, v44, v42
	v_add_f16_e32 v40, v23, v40
	v_add_f16_sdwa v50, v23, v51 dst_sel:DWORD dst_unused:UNUSED_PAD src0_sel:WORD_1 src1_sel:DWORD
	v_pk_add_f16 v37, v23, v37
	v_lshrrev_b32_e32 v51, 16, v35
	v_pk_add_f16 v36, v54, v45
	v_mul_f16_sdwa v45, v14, v55 dst_sel:DWORD dst_unused:UNUSED_PAD src0_sel:WORD_1 src1_sel:DWORD
	v_mul_f16_e32 v52, 0xba0c, v14
	v_add_f16_e32 v43, v53, v43
	v_alignbit_b32 v44, s0, v44, 16
	v_mul_f16_e32 v53, 0x3482, v14
	v_fma_f16 v54, v35, 0xbbad, -v45
	v_fmac_f16_e32 v45, 0xbbad, v35
	v_add_f16_sdwa v39, v23, v39 dst_sel:DWORD dst_unused:UNUSED_PAD src0_sel:WORD_1 src1_sel:DWORD
	v_add_f16_sdwa v49, v23, v49 dst_sel:DWORD dst_unused:UNUSED_PAD src0_sel:WORD_1 src1_sel:DWORD
	v_fmamk_f16 v56, v51, 0xb93d, v52
	v_fma_f16 v52, v51, 0xb93d, -v52
	v_mov_b32_e32 v55, 0x3beb
	v_pk_add_f16 v37, v44, v37
	v_fmamk_f16 v44, v51, 0xbbad, v53
	v_add_f16_e32 v40, v45, v40
	v_pk_add_f16 v45, v22, v17
	v_add_f16_e32 v48, v23, v48
	v_add_f16_e32 v39, v52, v39
	v_mul_f16_sdwa v52, v14, v55 dst_sel:DWORD dst_unused:UNUSED_PAD src0_sel:WORD_1 src1_sel:DWORD
	v_add_f16_e32 v44, v44, v49
	v_mul_f16_e32 v49, 0x3beb, v14
	v_pk_add_f16 v17, v17, v22 neg_lo:[0,1] neg_hi:[0,1]
	v_pk_mul_f16 v22, 0xb08ebbad, v45
	v_add_f16_sdwa v41, v23, v41 dst_sel:DWORD dst_unused:UNUSED_PAD src0_sel:WORD_1 src1_sel:DWORD
	v_add_f16_sdwa v38, v23, v38 dst_sel:DWORD dst_unused:UNUSED_PAD src0_sel:WORD_1 src1_sel:DWORD
	v_add_f16_e32 v48, v54, v48
	v_fma_f16 v53, v51, 0xbbad, -v53
	v_fma_f16 v54, v35, 0xb08e, -v52
	v_fmamk_f16 v55, v51, 0xb08e, v49
	v_fmac_f16_e32 v52, 0xb08e, v35
	v_fma_f16 v49, v51, 0xb08e, -v49
	v_mul_f16_sdwa v26, v17, v26 dst_sel:DWORD dst_unused:UNUSED_PAD src0_sel:WORD_1 src1_sel:DWORD
	v_pk_fma_f16 v51, 0x3482bbeb, v17, v22 op_sel:[0,0,1] op_sel_hi:[1,1,0] neg_lo:[0,1,0] neg_hi:[0,1,0]
	v_pk_fma_f16 v22, 0x3482bbeb, v17, v22 op_sel:[0,0,1] op_sel_hi:[1,1,0]
	v_add_f16_sdwa v47, v23, v47 dst_sel:DWORD dst_unused:UNUSED_PAD src0_sel:WORD_1 src1_sel:DWORD
	v_add_f16_e32 v41, v53, v41
	v_add_f16_e32 v50, v55, v50
	;; [unrolled: 1-line block ×4, first 2 shown]
	v_fma_f16 v49, v45, 0xb08e, -v26
	v_fmac_f16_e32 v26, 0xb08e, v45
	v_bfi_b32 v52, 0xffff, v22, v51
	v_lshrrev_b32_e32 v53, 16, v45
	v_mul_f16_e32 v55, 0x3482, v17
	v_add_f16_e32 v47, v56, v47
	v_add_f16_e32 v31, v54, v31
	v_mov_b32_e32 v54, 0x3b47
	v_add_f16_e32 v43, v49, v43
	v_add_f16_e32 v26, v26, v29
	v_pk_add_f16 v29, v52, v36
	v_fmamk_f16 v49, v53, 0xbbad, v55
	v_mul_f16_e32 v52, 0x3b47, v17
	v_mul_f16_sdwa v36, v17, v54 dst_sel:DWORD dst_unused:UNUSED_PAD src0_sel:WORD_1 src1_sel:DWORD
	v_alignbit_b32 v22, s0, v22, 16
	v_fma_f16 v55, v53, 0xbbad, -v55
	v_add_f16_e32 v47, v49, v47
	v_fmamk_f16 v49, v53, 0x36a6, v52
	v_fma_f16 v56, v45, 0x36a6, -v36
	v_fmac_f16_e32 v36, 0x36a6, v45
	v_pk_add_f16 v22, v22, v37
	v_add_f16_e32 v37, v55, v39
	v_add_f16_e32 v44, v49, v44
	v_fma_f16 v49, v53, 0x36a6, -v52
	v_mul_f16_e32 v52, 0xb853, v17
	v_add_f16_e32 v39, v56, v48
	v_mul_f16_sdwa v48, v17, v24 dst_sel:DWORD dst_unused:UNUSED_PAD src0_sel:WORD_1 src1_sel:DWORD
	v_add_f16_e32 v36, v36, v40
	v_pk_add_f16 v40, v21, v18
	v_add_f16_e32 v41, v49, v41
	v_fmamk_f16 v49, v53, 0x3abb, v52
	v_pk_add_f16 v21, v18, v21 neg_lo:[0,1] neg_hi:[0,1]
	v_fma_f16 v55, v45, 0x3abb, -v48
	v_pk_mul_f16 v18, 0xb93db08e, v40
	v_fmac_f16_e32 v48, 0x3abb, v45
	v_add_f16_e32 v49, v49, v50
	v_mul_f16_sdwa v50, v21, v28 dst_sel:DWORD dst_unused:UNUSED_PAD src0_sel:WORD_1 src1_sel:DWORD
	v_add_f16_e32 v31, v55, v31
	v_pk_fma_f16 v55, 0x3bebba0c, v21, v18 op_sel:[0,0,1] op_sel_hi:[1,1,0] neg_lo:[0,1,0] neg_hi:[0,1,0]
	v_pk_fma_f16 v56, 0x3bebba0c, v21, v18 op_sel:[0,0,1] op_sel_hi:[1,1,0]
	v_add_f16_e32 v16, v48, v16
	v_fma_f16 v18, v53, 0x3abb, -v52
	v_fma_f16 v48, v40, 0xb93d, -v50
	v_lshrrev_b32_e32 v53, 16, v40
	v_mul_f16_e32 v57, 0x3beb, v21
	v_bfi_b32 v52, 0xffff, v56, v55
	v_add_f16_e32 v18, v18, v38
	v_add_f16_e32 v38, v48, v43
	v_mul_f16_sdwa v24, v21, v24 dst_sel:DWORD dst_unused:UNUSED_PAD src0_sel:WORD_1 src1_sel:DWORD
	v_fmamk_f16 v43, v53, 0xb08e, v57
	v_mov_b32_e32 v48, 0xb482
	v_pk_add_f16 v29, v52, v29
	v_fma_f16 v52, v53, 0xb08e, -v57
	v_fmac_f16_e32 v50, 0xb93d, v40
	v_add_f16_e32 v43, v43, v47
	v_fma_f16 v47, v40, 0x3abb, -v24
	v_mul_f16_sdwa v57, v21, v48 dst_sel:DWORD dst_unused:UNUSED_PAD src0_sel:WORD_1 src1_sel:DWORD
	v_add_f16_e32 v37, v52, v37
	v_add_f16_e32 v26, v50, v26
	v_mul_f16_e32 v50, 0xb853, v21
	v_add_f16_e32 v39, v47, v39
	v_fma_f16 v47, v40, 0xbbad, -v57
	v_fmac_f16_e32 v24, 0x3abb, v40
	v_mul_f16_e32 v52, 0xb482, v21
	v_add_f16_sdwa v46, v23, v46 dst_sel:DWORD dst_unused:UNUSED_PAD src0_sel:WORD_1 src1_sel:DWORD
	v_fmamk_f16 v58, v53, 0x3abb, v50
	v_add_f16_e32 v31, v47, v31
	v_pk_add_f16 v47, v19, v20 neg_lo:[0,1] neg_hi:[0,1]
	v_add_f16_e32 v24, v24, v36
	v_fma_f16 v36, v53, 0x3abb, -v50
	v_fmamk_f16 v50, v53, 0xbbad, v52
	v_pk_add_f16 v19, v20, v19
	v_mul_f16_sdwa v20, v47, v48 dst_sel:DWORD dst_unused:UNUSED_PAD src0_sel:WORD_1 src1_sel:DWORD
	v_add_f16_e32 v42, v42, v46
	v_fma_f16 v46, v53, 0xbbad, -v52
	v_add_f16_e32 v48, v50, v49
	v_pk_mul_f16 v50, 0xbbad3abb, v19
	v_fma_f16 v49, v19, 0xbbad, -v20
	v_fmac_f16_e32 v20, 0xbbad, v19
	v_add_f16_e32 v42, v51, v42
	v_add_f16_e32 v46, v46, v18
	v_mul_f16_e32 v51, 0x3853, v47
	v_add_f16_e32 v38, v49, v38
	v_add_f16_e32 v18, v20, v26
	v_pk_fma_f16 v20, 0x3853b482, v47, v50 op_sel:[0,0,1] op_sel_hi:[1,1,0] neg_lo:[0,1,0] neg_hi:[0,1,0]
	v_add_f16_e32 v26, v55, v42
	v_pk_fma_f16 v42, 0x3853b482, v47, v50 op_sel:[0,0,1] op_sel_hi:[1,1,0]
	v_lshrrev_b32_e32 v49, 16, v19
	v_mul_f16_sdwa v28, v47, v28 dst_sel:DWORD dst_unused:UNUSED_PAD src0_sel:WORD_1 src1_sel:DWORD
	v_add_f16_e32 v44, v58, v44
	v_fmac_f16_e32 v57, 0xbbad, v40
	v_bfi_b32 v42, 0xffff, v42, v20
	v_add_f16_e32 v20, v20, v26
	v_fmamk_f16 v26, v49, 0x3abb, v51
	v_fma_f16 v51, v49, 0x3abb, -v51
	v_fma_f16 v53, v19, 0xb93d, -v28
	v_pk_add_f16 v29, v42, v29
	v_mul_f16_e32 v42, 0xb93d, v49
	v_add_f16_e32 v26, v26, v43
	v_add_f16_e32 v37, v51, v37
	v_mul_f16_sdwa v43, v47, v54 dst_sel:DWORD dst_unused:UNUSED_PAD src0_sel:WORD_1 src1_sel:DWORD
	v_fmac_f16_e32 v28, 0xb93d, v19
	v_fmamk_f16 v51, v47, 0xba0c, v42
	v_mul_f16_e32 v54, 0x3b47, v47
	v_pk_mul_f16 v13, 0xbbad, v13 op_sel_hi:[0,1]
	v_add_f16_e32 v16, v57, v16
	v_fma_f16 v55, v19, 0x36a6, -v43
	v_add_f16_e32 v44, v51, v44
	v_add_f16_e32 v24, v28, v24
	v_fmamk_f16 v28, v49, 0x36a6, v54
	v_fmac_f16_e32 v43, 0x36a6, v19
	v_fma_f16 v49, v49, 0x36a6, -v54
	v_pk_fma_f16 v51, 0xb482, v34, v13 op_sel:[0,0,1] op_sel_hi:[0,1,0] neg_lo:[0,1,0] neg_hi:[0,1,0]
	v_pk_mul_f16 v35, 0x3abb, v35 op_sel_hi:[0,1]
	v_pk_fma_f16 v13, 0xb482, v34, v13 op_sel:[0,0,1] op_sel_hi:[0,1,0]
	v_add_f16_e32 v16, v43, v16
	v_add_f16_e32 v43, v49, v46
	v_alignbit_b32 v46, s0, v51, 16
	v_pk_fma_f16 v34, 0x3853, v14, v35 op_sel:[0,0,1] op_sel_hi:[0,1,0] neg_lo:[0,1,0] neg_hi:[0,1,0]
	v_pk_mul_f16 v45, 0xb93d, v45 op_sel_hi:[0,1]
	v_pk_add_f16 v13, v23, v13 op_sel:[1,0] op_sel_hi:[0,1]
	v_pk_fma_f16 v14, 0x3853, v14, v35 op_sel:[0,0,1] op_sel_hi:[0,1,0]
	v_pk_add_f16 v46, v23, v46
	v_alignbit_b32 v23, s0, v34, 16
	v_pk_fma_f16 v35, 0xba0c, v17, v45 op_sel:[0,0,1] op_sel_hi:[0,1,0] neg_lo:[0,1,0] neg_hi:[0,1,0]
	v_pk_mul_f16 v40, 0x36a6, v40 op_sel_hi:[0,1]
	v_pk_add_f16 v13, v14, v13
	v_pk_fma_f16 v17, 0xba0c, v17, v45 op_sel:[0,0,1] op_sel_hi:[0,1,0]
	v_pk_add_f16 v23, v23, v46
	v_alignbit_b32 v14, s0, v35, 16
	v_pk_fma_f16 v45, 0x3b47, v21, v40 op_sel:[0,0,1] op_sel_hi:[0,1,0] neg_lo:[0,1,0] neg_hi:[0,1,0]
	v_pk_add_f16 v33, v33, v51
	v_pk_add_f16 v13, v17, v13
	v_pk_fma_f16 v21, 0x3b47, v21, v40 op_sel:[0,0,1] op_sel_hi:[0,1,0]
	v_pk_add_f16 v14, v14, v23
	v_alignbit_b32 v17, s0, v45, 16
	v_pk_add_f16 v33, v34, v33
	v_pk_mul_f16 v19, 0xb08e, v19 op_sel_hi:[0,1]
	v_pk_mul_f16 v52, 0x3853b482, v47
	v_add_f16_e32 v39, v53, v39
	v_mul_f16_e32 v53, 0xba0c, v47
	v_alignbit_b32 v26, v26, v29, 16
	v_pack_b32_f16 v29, v38, v29
	v_pk_add_f16 v14, v17, v14
	v_lshlrev_b32_e32 v17, 16, v22
	v_pk_add_f16 v23, v35, v33
	v_pk_add_f16 v13, v21, v13
	v_pk_fma_f16 v21, 0xbbeb, v47, v19 op_sel:[0,0,1] op_sel_hi:[0,1,0] neg_lo:[0,1,0] neg_hi:[0,1,0]
	ds_write2_b32 v30, v29, v26 offset0:1 offset1:2
	v_pack_b32_f16 v22, v36, v50
	v_bfi_b32 v26, 0xffff, v41, v52
	v_pk_add_f16 v29, v42, v53 neg_lo:[0,1] neg_hi:[0,1]
	v_pk_add_f16 v17, v56, v17
	v_pk_fma_f16 v19, 0xbbeb, v47, v19 op_sel:[0,0,1] op_sel_hi:[0,1,0]
	v_pk_add_f16 v23, v45, v23
	v_alignbit_b32 v33, s0, v21, 16
	v_pk_add_f16 v22, v22, v26
	v_bfi_b32 v17, 0xffff, v29, v17
	v_add_f16_e32 v31, v55, v31
	v_add_f16_e32 v28, v28, v48
	v_pk_add_f16 v13, v19, v13
	v_pk_add_f16 v19, v21, v23
	;; [unrolled: 1-line block ×4, first 2 shown]
	v_pack_b32_f16 v21, v31, v28
	v_pack_b32_f16 v22, v39, v44
	v_alignbit_b32 v19, v19, v13, 16
	v_pack_b32_f16 v13, v14, v13
	v_pack_b32_f16 v14, v16, v43
	v_alignbit_b32 v16, v37, v17, 16
	v_pack_b32_f16 v17, v24, v17
	v_lshl_add_u32 v29, v11, 2, v0
	v_pack_b32_f16 v23, v18, v20
	v_lshl_add_u32 v28, v10, 2, v0
	ds_write2_b32 v30, v22, v21 offset0:3 offset1:4
	ds_write2_b32 v30, v13, v19 offset0:5 offset1:6
	ds_write2_b32 v30, v15, v14 offset1:7
	ds_write2_b32 v30, v17, v16 offset0:8 offset1:9
	ds_write_b32 v30, v23 offset:40
	v_lshl_add_u32 v30, v12, 2, v0
	v_lshl_add_u32 v31, v7, 2, v0
	s_waitcnt lgkmcnt(0)
	s_barrier
	buffer_gl0_inv
	ds_read_b32 v22, v27
	ds_read2_b32 v[13:14], v8 offset0:176 offset1:208
	ds_read2_b32 v[15:16], v32 offset0:112 offset1:144
	ds_read_b32 v24, v29
	ds_read_b32 v26, v28
	;; [unrolled: 1-line block ×4, first 2 shown]
	ds_read_b32 v17, v8 offset:1216
	v_cmp_gt_u32_e64 s0, 16, v3
                                        ; implicit-def: $vgpr21
                                        ; implicit-def: $vgpr19
	s_and_saveexec_b32 s1, s0
	s_cbranch_execz .LBB0_15
; %bb.14:
	v_lshlrev_b32_e32 v18, 2, v9
	v_add3_u32 v18, 0, v18, v25
	ds_read_b32 v18, v18
	ds_read_b32 v19, v8 offset:1344
	s_waitcnt lgkmcnt(1)
	v_lshrrev_b32_e32 v20, 16, v18
	s_waitcnt lgkmcnt(0)
	v_lshrrev_b32_e32 v21, 16, v19
.LBB0_15:
	s_or_b32 exec_lo, exec_lo, s1
	v_and_b32_e32 v23, 0xff, v3
	v_and_b32_e32 v38, 0xff, v9
	;; [unrolled: 1-line block ×5, first 2 shown]
	v_mul_lo_u16 v23, 0x75, v23
	v_and_b32_e32 v32, 0xff, v7
	v_mul_lo_u16 v38, 0x75, v38
	v_mul_lo_u16 v37, 0x75, v37
	;; [unrolled: 1-line block ×3, first 2 shown]
	v_lshrrev_b16 v23, 8, v23
	v_mul_lo_u16 v33, 0x75, v33
	v_mul_lo_u16 v32, 0x75, v32
	v_lshrrev_b16 v38, 8, v38
	v_lshrrev_b16 v37, 8, v37
	v_sub_nc_u16 v39, v3, v23
	v_lshrrev_b16 v34, 8, v34
	v_lshrrev_b16 v33, 8, v33
	;; [unrolled: 1-line block ×3, first 2 shown]
	v_sub_nc_u16 v44, v9, v38
	v_lshrrev_b16 v39, 1, v39
	v_sub_nc_u16 v43, v10, v37
	v_sub_nc_u16 v42, v11, v34
	;; [unrolled: 1-line block ×4, first 2 shown]
	v_and_b32_e32 v39, 0x7f, v39
	v_lshrrev_b16 v44, 1, v44
	v_lshrrev_b16 v42, 1, v42
	v_lshrrev_b16 v41, 1, v41
	v_lshrrev_b16 v40, 1, v40
	v_add_nc_u16 v23, v39, v23
	v_lshrrev_b16 v39, 1, v43
	v_and_b32_e32 v43, 0x7f, v44
	v_and_b32_e32 v42, 0x7f, v42
	;; [unrolled: 1-line block ×5, first 2 shown]
	v_add_nc_u16 v38, v43, v38
	v_add_nc_u16 v34, v42, v34
	;; [unrolled: 1-line block ×5, first 2 shown]
	v_lshrrev_b16 v23, 3, v23
	v_lshrrev_b16 v37, 3, v38
	;; [unrolled: 1-line block ×6, first 2 shown]
	v_mul_lo_u16 v40, v23, 11
	v_mul_lo_u16 v38, v37, 11
	;; [unrolled: 1-line block ×6, first 2 shown]
	v_sub_nc_u16 v40, v3, v40
	v_sub_nc_u16 v38, v9, v38
	v_mov_b32_e32 v45, 2
	v_sub_nc_u16 v43, v10, v43
	v_sub_nc_u16 v44, v11, v44
	;; [unrolled: 1-line block ×4, first 2 shown]
	v_lshlrev_b32_sdwa v38, v45, v38 dst_sel:DWORD dst_unused:UNUSED_PAD src0_sel:DWORD src1_sel:BYTE_0
	v_lshlrev_b32_sdwa v40, v45, v40 dst_sel:DWORD dst_unused:UNUSED_PAD src0_sel:DWORD src1_sel:BYTE_0
	;; [unrolled: 1-line block ×6, first 2 shown]
	s_clause 0x5
	global_load_dword v46, v38, s[12:13]
	global_load_dword v45, v40, s[12:13]
	;; [unrolled: 1-line block ×6, first 2 shown]
	v_and_b32_e32 v23, 0xffff, v23
	v_and_b32_e32 v32, 0xffff, v32
	;; [unrolled: 1-line block ×5, first 2 shown]
	v_mad_u32_u24 v23, 0x58, v23, 0
	v_mad_u32_u24 v32, 0x58, v32, 0
	;; [unrolled: 1-line block ×5, first 2 shown]
	v_add3_u32 v40, v23, v40, v25
	v_add3_u32 v41, v32, v41, v25
	;; [unrolled: 1-line block ×5, first 2 shown]
	s_waitcnt vmcnt(0) lgkmcnt(0)
	s_barrier
	buffer_gl0_inv
	v_pk_mul_f16 v33, v45, v13 op_sel:[0,1]
	v_pk_mul_f16 v34, v47, v17 op_sel:[0,1]
	;; [unrolled: 1-line block ×3, first 2 shown]
	v_mul_f16_sdwa v23, v21, v46 dst_sel:DWORD dst_unused:UNUSED_PAD src0_sel:DWORD src1_sel:WORD_1
	v_mul_f16_sdwa v32, v19, v46 dst_sel:DWORD dst_unused:UNUSED_PAD src0_sel:DWORD src1_sel:WORD_1
	v_pk_mul_f16 v51, v49, v15 op_sel:[0,1]
	v_pk_mul_f16 v52, v50, v14 op_sel:[0,1]
	v_fma_f16 v19, v19, v46, -v23
	v_fmac_f16_e32 v32, v21, v46
	v_pk_fma_f16 v21, v45, v13, v33 op_sel:[0,0,1] op_sel_hi:[1,0,0]
	v_pk_fma_f16 v13, v45, v13, v33 op_sel:[0,0,1] op_sel_hi:[1,0,0] neg_lo:[0,0,1] neg_hi:[0,0,1]
	v_pk_fma_f16 v23, v47, v17, v34 op_sel:[0,0,1] op_sel_hi:[1,0,0]
	v_pk_fma_f16 v17, v47, v17, v34 op_sel:[0,0,1] op_sel_hi:[1,0,0] neg_lo:[0,0,1] neg_hi:[0,0,1]
	v_pk_fma_f16 v33, v48, v16, v43 op_sel:[0,0,1] op_sel_hi:[1,1,0] neg_lo:[0,0,1] neg_hi:[0,0,1]
	v_pk_fma_f16 v16, v48, v16, v43 op_sel:[0,0,1] op_sel_hi:[1,0,0]
	v_pk_fma_f16 v43, v49, v15, v51 op_sel:[0,0,1] op_sel_hi:[1,1,0] neg_lo:[0,0,1] neg_hi:[0,0,1]
	v_pk_fma_f16 v15, v49, v15, v51 op_sel:[0,0,1] op_sel_hi:[1,0,0]
	;; [unrolled: 2-line block ×3, first 2 shown]
	v_bfi_b32 v21, 0xffff, v13, v21
	v_bfi_b32 v17, 0xffff, v17, v23
	;; [unrolled: 1-line block ×5, first 2 shown]
	v_sub_f16_e32 v13, v18, v19
	v_sub_f16_e32 v34, v20, v32
	v_pk_add_f16 v19, v22, v21 neg_lo:[0,1] neg_hi:[0,1]
	v_pk_add_f16 v17, v26, v17 neg_lo:[0,1] neg_hi:[0,1]
	;; [unrolled: 1-line block ×5, first 2 shown]
	v_fma_f16 v18, v18, 2.0, -v13
	v_fma_f16 v33, v20, 2.0, -v34
	v_pk_fma_f16 v32, v22, 2.0, v19 op_sel_hi:[1,0,1] neg_lo:[0,0,1] neg_hi:[0,0,1]
	v_pk_fma_f16 v20, v36, 2.0, v15 op_sel_hi:[1,0,1] neg_lo:[0,0,1] neg_hi:[0,0,1]
	;; [unrolled: 1-line block ×5, first 2 shown]
	ds_write2_b32 v40, v32, v19 offset1:11
	ds_write2_b32 v41, v20, v15 offset1:11
	;; [unrolled: 1-line block ×5, first 2 shown]
	s_and_saveexec_b32 s1, s0
	s_cbranch_execz .LBB0_17
; %bb.16:
	v_and_b32_e32 v14, 0xffff, v37
	v_perm_b32 v26, v33, v18, 0x5040100
	v_mad_u32_u24 v14, 0x58, v14, 0
	v_add3_u32 v14, v14, v38, v25
	v_perm_b32 v25, v34, v13, 0x5040100
	ds_write2_b32 v14, v26, v25 offset1:11
.LBB0_17:
	s_or_b32 exec_lo, exec_lo, s1
	v_cmp_gt_u32_e64 s0, 22, v3
	v_lshrrev_b32_e32 v35, 16, v19
	v_lshrrev_b32_e32 v40, 16, v24
	;; [unrolled: 1-line block ×7, first 2 shown]
	s_waitcnt lgkmcnt(0)
	s_barrier
	buffer_gl0_inv
                                        ; implicit-def: $vgpr44
                                        ; implicit-def: $vgpr45
                                        ; implicit-def: $vgpr25
                                        ; implicit-def: $vgpr46
                                        ; implicit-def: $vgpr42
                                        ; implicit-def: $vgpr37
	s_and_saveexec_b32 s1, s0
	s_cbranch_execz .LBB0_19
; %bb.18:
	v_add_nc_u32_e32 v13, 0x200, v8
	v_add_nc_u32_e32 v21, 0x400, v8
	ds_read2_b32 v[17:18], v8 offset0:198 offset1:220
	ds_read_b32 v37, v8 offset:1320
	ds_read2_b32 v[19:20], v8 offset0:22 offset1:44
	ds_read2_b32 v[15:16], v8 offset0:66 offset1:88
	;; [unrolled: 1-line block ×6, first 2 shown]
	ds_read_b32 v32, v27
	s_waitcnt lgkmcnt(8)
	v_lshrrev_b32_e32 v33, 16, v18
	s_waitcnt lgkmcnt(7)
	v_lshrrev_b32_e32 v42, 16, v37
	;; [unrolled: 2-line block ×3, first 2 shown]
	v_lshrrev_b32_e32 v39, 16, v20
	s_waitcnt lgkmcnt(5)
	v_lshrrev_b32_e32 v38, 16, v15
	v_lshrrev_b32_e32 v36, 16, v16
	s_waitcnt lgkmcnt(4)
	v_lshrrev_b32_e32 v41, 16, v23
	;; [unrolled: 3-line block ×5, first 2 shown]
.LBB0_19:
	s_or_b32 exec_lo, exec_lo, s1
	s_waitcnt lgkmcnt(0)
	s_barrier
	buffer_gl0_inv
	s_and_saveexec_b32 s1, s0
	s_cbranch_execz .LBB0_21
; %bb.20:
	v_subrev_nc_u32_e32 v47, 22, v3
	v_mov_b32_e32 v48, 0
	v_lshrrev_b32_e32 v62, 16, v22
	v_lshrrev_b32_e32 v63, 16, v17
	;; [unrolled: 1-line block ×3, first 2 shown]
	v_cndmask_b32_e64 v47, v47, v3, s0
	v_add_nc_u32_e32 v65, 0x200, v8
	v_add_nc_u32_e32 v66, 0x400, v8
	v_mul_i32_i24_e32 v47, 15, v47
	v_lshlrev_b64 v[47:48], 2, v[47:48]
	v_add_co_u32 v59, s0, s12, v47
	v_add_co_ci_u32_e64 v60, s0, s13, v48, s0
	s_clause 0x3
	global_load_dwordx4 v[47:50], v[59:60], off offset:60
	global_load_dwordx4 v[51:54], v[59:60], off offset:44
	;; [unrolled: 1-line block ×3, first 2 shown]
	global_load_dwordx3 v[59:61], v[59:60], off offset:92
	s_waitcnt vmcnt(3)
	v_mul_f16_sdwa v67, v62, v50 dst_sel:DWORD dst_unused:UNUSED_PAD src0_sel:DWORD src1_sel:WORD_1
	s_waitcnt vmcnt(2)
	v_mul_f16_sdwa v68, v39, v52 dst_sel:DWORD dst_unused:UNUSED_PAD src0_sel:DWORD src1_sel:WORD_1
	;; [unrolled: 2-line block ×3, first 2 shown]
	v_mul_f16_sdwa v71, v40, v48 dst_sel:DWORD dst_unused:UNUSED_PAD src0_sel:DWORD src1_sel:WORD_1
	v_mul_f16_sdwa v72, v41, v47 dst_sel:DWORD dst_unused:UNUSED_PAD src0_sel:DWORD src1_sel:WORD_1
	;; [unrolled: 1-line block ×14, first 2 shown]
	s_waitcnt vmcnt(0)
	v_mul_f16_sdwa v84, v37, v61 dst_sel:DWORD dst_unused:UNUSED_PAD src0_sel:DWORD src1_sel:WORD_1
	v_mul_f16_sdwa v85, v26, v60 dst_sel:DWORD dst_unused:UNUSED_PAD src0_sel:DWORD src1_sel:WORD_1
	;; [unrolled: 1-line block ×6, first 2 shown]
	v_fma_f16 v24, v24, v48, -v71
	v_fma_f16 v23, v23, v47, -v72
	v_mul_f16_sdwa v71, v13, v57 dst_sel:DWORD dst_unused:UNUSED_PAD src0_sel:DWORD src1_sel:WORD_1
	v_mul_f16_sdwa v72, v25, v59 dst_sel:DWORD dst_unused:UNUSED_PAD src0_sel:DWORD src1_sel:WORD_1
	v_fma_f16 v20, v20, v52, -v68
	v_fma_f16 v19, v19, v51, -v75
	v_mul_f16_sdwa v68, v38, v53 dst_sel:DWORD dst_unused:UNUSED_PAD src0_sel:DWORD src1_sel:WORD_1
	v_mul_f16_sdwa v75, v34, v57 dst_sel:DWORD dst_unused:UNUSED_PAD src0_sel:DWORD src1_sel:WORD_1
	;; [unrolled: 4-line block ×3, first 2 shown]
	v_fma_f16 v22, v22, v50, -v67
	v_mul_f16_sdwa v67, v44, v58 dst_sel:DWORD dst_unused:UNUSED_PAD src0_sel:DWORD src1_sel:WORD_1
	v_fma_f16 v21, v21, v49, -v79
	v_fmac_f16_e32 v70, v40, v48
	v_fmac_f16_e32 v73, v39, v52
	;; [unrolled: 1-line block ×7, first 2 shown]
	v_fma_f16 v33, v37, v61, -v86
	v_fmac_f16_e32 v78, v35, v51
	v_fmac_f16_e32 v80, v63, v55
	;; [unrolled: 1-line block ×7, first 2 shown]
	v_fma_f16 v26, v26, v60, -v88
	v_fma_f16 v15, v15, v53, -v68
	;; [unrolled: 1-line block ×4, first 2 shown]
	v_fmac_f16_e32 v82, v62, v50
	v_fma_f16 v16, v16, v54, -v77
	v_fma_f16 v14, v14, v58, -v67
	v_sub_f16_e32 v22, v32, v22
	v_sub_f16_e32 v34, v83, v87
	v_sub_f16_e32 v18, v20, v18
	v_sub_f16_e32 v35, v70, v85
	v_sub_f16_e32 v36, v73, v74
	v_sub_f16_e32 v26, v24, v26
	v_sub_f16_e32 v17, v19, v17
	v_sub_f16_e32 v37, v76, v72
	v_sub_f16_e32 v13, v15, v13
	v_sub_f16_e32 v38, v81, v84
	v_sub_f16_e32 v39, v89, v71
	v_sub_f16_e32 v33, v21, v33
	v_sub_f16_e32 v40, v78, v80
	v_sub_f16_e32 v25, v23, v25
	v_sub_f16_e32 v41, v64, v82
	v_sub_f16_e32 v14, v16, v14
	v_sub_f16_e32 v42, v22, v34
	v_sub_f16_e32 v43, v18, v35
	v_add_f16_e32 v44, v36, v26
	v_sub_f16_e32 v45, v17, v37
	v_sub_f16_e32 v46, v13, v38
	v_add_f16_e32 v47, v39, v33
	v_add_f16_e32 v48, v40, v25
	;; [unrolled: 1-line block ×3, first 2 shown]
	v_fma_f16 v50, v78, 2.0, -v40
	v_fma_f16 v37, v76, 2.0, -v37
	;; [unrolled: 1-line block ×16, first 2 shown]
	v_fmamk_f16 v26, v43, 0x39a8, v42
	v_fmamk_f16 v51, v46, 0x39a8, v45
	;; [unrolled: 1-line block ×4, first 2 shown]
	v_fma_f16 v22, v22, 2.0, -v42
	v_fma_f16 v18, v18, 2.0, -v43
	;; [unrolled: 1-line block ×8, first 2 shown]
	v_sub_f16_e32 v37, v50, v37
	v_sub_f16_e32 v21, v15, v21
	;; [unrolled: 1-line block ×8, first 2 shown]
	v_fmac_f16_e32 v26, 0xb9a8, v44
	v_fmac_f16_e32 v51, 0xb9a8, v47
	;; [unrolled: 1-line block ×4, first 2 shown]
	v_fmamk_f16 v43, v18, 0xb9a8, v22
	v_fmamk_f16 v44, v13, 0xb9a8, v17
	;; [unrolled: 1-line block ×4, first 2 shown]
	v_add_f16_e32 v56, v37, v21
	v_add_f16_e32 v57, v34, v24
	v_sub_f16_e32 v54, v14, v35
	v_sub_f16_e32 v55, v23, v38
	v_fma_f16 v32, v32, 2.0, -v14
	v_fma_f16 v20, v20, 2.0, -v24
	;; [unrolled: 1-line block ×8, first 2 shown]
	v_fmac_f16_e32 v43, 0xb9a8, v36
	v_fmac_f16_e32 v44, 0xb9a8, v39
	;; [unrolled: 1-line block ×4, first 2 shown]
	v_fmamk_f16 v13, v51, 0x3b64, v26
	v_fma_f16 v37, v37, 2.0, -v56
	v_fma_f16 v34, v34, 2.0, -v57
	v_fmamk_f16 v36, v55, 0x39a8, v54
	v_sub_f16_e32 v20, v32, v20
	v_sub_f16_e32 v25, v24, v25
	;; [unrolled: 1-line block ×4, first 2 shown]
	v_fma_f16 v21, v42, 2.0, -v26
	v_fma_f16 v35, v45, 2.0, -v51
	;; [unrolled: 1-line block ×4, first 2 shown]
	v_fmamk_f16 v18, v52, 0x3b64, v53
	v_fmamk_f16 v39, v56, 0x39a8, v57
	v_fma_f16 v14, v14, 2.0, -v54
	v_fma_f16 v23, v23, 2.0, -v55
	v_fmac_f16_e32 v13, 0xb61f, v52
	v_fmamk_f16 v52, v37, 0xb9a8, v34
	v_fma_f16 v22, v22, 2.0, -v43
	v_fma_f16 v17, v17, 2.0, -v44
	;; [unrolled: 1-line block ×4, first 2 shown]
	v_fmac_f16_e32 v36, 0xb9a8, v56
	v_add_f16_e32 v56, v16, v15
	v_fma_f16 v32, v32, 2.0, -v20
	v_fma_f16 v15, v19, 2.0, -v15
	;; [unrolled: 1-line block ×4, first 2 shown]
	v_fmamk_f16 v45, v35, 0xb61f, v21
	v_fmamk_f16 v48, v38, 0xb61f, v42
	;; [unrolled: 1-line block ×4, first 2 shown]
	v_fmac_f16_e32 v18, 0x361f, v51
	v_fmac_f16_e32 v39, 0x39a8, v55
	v_fmamk_f16 v51, v23, 0xb9a8, v14
	v_sub_f16_e32 v55, v20, v25
	v_fmac_f16_e32 v52, 0x39a8, v23
	v_fmamk_f16 v23, v17, 0xbb64, v22
	v_fmamk_f16 v33, v40, 0xbb64, v41
	v_sub_f16_e32 v15, v32, v15
	v_sub_f16_e32 v24, v19, v24
	v_fmac_f16_e32 v45, 0xbb64, v38
	v_fmac_f16_e32 v48, 0x3b64, v35
	;; [unrolled: 1-line block ×4, first 2 shown]
	v_fma_f16 v25, v26, 2.0, -v13
	v_fma_f16 v26, v53, 2.0, -v18
	v_fmac_f16_e32 v51, 0xb9a8, v37
	v_fma_f16 v20, v20, 2.0, -v55
	v_fma_f16 v16, v16, 2.0, -v56
	;; [unrolled: 1-line block ×4, first 2 shown]
	v_fmac_f16_e32 v23, 0xb61f, v40
	v_fmac_f16_e32 v33, 0x361f, v17
	v_fma_f16 v17, v32, 2.0, -v15
	v_fma_f16 v19, v19, 2.0, -v24
	;; [unrolled: 1-line block ×4, first 2 shown]
	v_pack_b32_f16 v36, v36, v39
	v_pack_b32_f16 v13, v13, v18
	v_fma_f16 v18, v43, 2.0, -v49
	v_fma_f16 v39, v47, 2.0, -v50
	v_pack_b32_f16 v25, v25, v26
	v_pack_b32_f16 v15, v15, v24
	v_fma_f16 v14, v14, 2.0, -v51
	v_fma_f16 v34, v34, 2.0, -v52
	v_pack_b32_f16 v16, v20, v16
	v_pack_b32_f16 v20, v35, v37
	v_fma_f16 v22, v22, 2.0, -v23
	v_fma_f16 v35, v41, 2.0, -v33
	v_pack_b32_f16 v38, v55, v56
	v_pack_b32_f16 v26, v45, v48
	;; [unrolled: 1-line block ×7, first 2 shown]
	ds_write2_b32 v8, v25, v15 offset0:154 offset1:176
	v_pack_b32_f16 v15, v23, v33
	v_pack_b32_f16 v14, v14, v34
	;; [unrolled: 1-line block ×3, first 2 shown]
	ds_write2_b32 v65, v26, v38 offset0:114 offset1:136
	ds_write2_b32 v66, v32, v36 offset0:30 offset1:52
	ds_write_b32 v27, v17
	ds_write2_b32 v8, v19, v16 offset0:66 offset1:88
	ds_write2_b32 v8, v18, v20 offset0:110 offset1:132
	ds_write2_b32 v8, v15, v24 offset0:198 offset1:220
	ds_write2_b32 v8, v21, v14 offset0:22 offset1:44
	ds_write_b32 v8, v13 offset:1320
.LBB0_21:
	s_or_b32 exec_lo, exec_lo, s1
	s_waitcnt lgkmcnt(0)
	s_barrier
	buffer_gl0_inv
	ds_read_b32 v8, v27
	v_sub_nc_u32_e32 v14, v0, v4
	s_mov_b32 s1, exec_lo
                                        ; implicit-def: $vgpr16
                                        ; implicit-def: $vgpr4
                                        ; implicit-def: $vgpr15
	v_cmpx_ne_u32_e32 0, v3
	s_xor_b32 s1, exec_lo, s1
	s_cbranch_execz .LBB0_23
; %bb.22:
	v_mov_b32_e32 v4, 0
	v_lshlrev_b64 v[15:16], 2, v[3:4]
	ds_read_b32 v4, v14 offset:1408
	v_add_co_u32 v15, s0, s12, v15
	v_add_co_ci_u32_e64 v16, s0, s13, v16, s0
	global_load_dword v13, v[15:16], off offset:1364
	s_waitcnt lgkmcnt(0)
	v_sub_f16_e32 v15, v8, v4
	v_add_f16_sdwa v16, v4, v8 dst_sel:DWORD dst_unused:UNUSED_PAD src0_sel:WORD_1 src1_sel:WORD_1
	v_sub_f16_sdwa v17, v8, v4 dst_sel:DWORD dst_unused:UNUSED_PAD src0_sel:WORD_1 src1_sel:WORD_1
	v_add_f16_e32 v4, v4, v8
	v_mul_f16_e32 v18, 0.5, v15
	v_mul_f16_e32 v8, 0.5, v16
	;; [unrolled: 1-line block ×3, first 2 shown]
	s_waitcnt vmcnt(0)
	v_lshrrev_b32_e32 v15, 16, v13
	v_mul_f16_e32 v17, v15, v18
	v_fma_f16 v19, v8, v15, v16
	v_fma_f16 v16, v8, v15, -v16
	v_fma_f16 v20, 0.5, v4, v17
	v_fma_f16 v4, v4, 0.5, -v17
	v_fma_f16 v15, -v13, v18, v19
	v_fma_f16 v16, -v13, v18, v16
	v_fmac_f16_e32 v20, v13, v8
	v_fma_f16 v4, -v13, v8, v4
                                        ; implicit-def: $vgpr8
	ds_write_b16 v27, v20
.LBB0_23:
	s_andn2_saveexec_b32 s0, s1
	s_cbranch_execz .LBB0_25
; %bb.24:
	ds_read_u16 v13, v0 offset:706
	s_waitcnt lgkmcnt(1)
	v_add_f16_sdwa v17, v8, v8 dst_sel:DWORD dst_unused:UNUSED_PAD src0_sel:WORD_1 src1_sel:DWORD
	v_sub_f16_sdwa v4, v8, v8 dst_sel:DWORD dst_unused:UNUSED_PAD src0_sel:DWORD src1_sel:WORD_1
	v_mov_b32_e32 v15, 0
	v_mov_b32_e32 v16, 0
	s_waitcnt lgkmcnt(0)
	v_xor_b32_e32 v8, 0x8000, v13
	ds_write_b16 v27, v17
	ds_write_b16 v0, v8 offset:706
.LBB0_25:
	s_or_b32 exec_lo, exec_lo, s0
	s_waitcnt lgkmcnt(0)
	v_mov_b32_e32 v8, 0
	v_perm_b32 v4, v16, v4, 0x5040100
	s_mov_b32 s1, exec_lo
	v_lshlrev_b64 v[17:18], 2, v[7:8]
	v_mov_b32_e32 v13, v8
	v_lshlrev_b64 v[12:13], 2, v[12:13]
	v_add_co_u32 v17, s0, s12, v17
	v_add_co_ci_u32_e64 v18, s0, s13, v18, s0
	v_add_co_u32 v12, s0, s12, v12
	global_load_dword v7, v[17:18], off offset:1364
	v_add_co_ci_u32_e64 v13, s0, s13, v13, s0
	global_load_dword v13, v[12:13], off offset:1364
	v_mov_b32_e32 v12, v8
	v_lshlrev_b64 v[11:12], 2, v[11:12]
	v_add_co_u32 v11, s0, s12, v11
	v_add_co_ci_u32_e64 v12, s0, s13, v12, s0
	global_load_dword v12, v[11:12], off offset:1364
	v_mov_b32_e32 v11, v8
	v_lshlrev_b64 v[10:11], 2, v[10:11]
	v_add_co_u32 v10, s0, s12, v10
	v_add_co_ci_u32_e64 v11, s0, s13, v11, s0
	global_load_dword v10, v[10:11], off offset:1364
	ds_write_b16 v27, v15 offset:2
	ds_write_b32 v14, v4 offset:1408
	ds_read_b32 v4, v31
	ds_read_b32 v11, v14 offset:1280
	s_waitcnt lgkmcnt(0)
	v_pk_add_f16 v15, v4, v11 neg_lo:[0,1] neg_hi:[0,1]
	v_pk_add_f16 v4, v4, v11
	v_bfi_b32 v11, 0xffff, v15, v4
	v_bfi_b32 v4, 0xffff, v4, v15
	v_pk_mul_f16 v11, v11, 0.5 op_sel_hi:[1,0]
	v_pk_mul_f16 v4, v4, 0.5 op_sel_hi:[1,0]
	s_waitcnt vmcnt(3)
	v_pk_fma_f16 v15, v7, v11, v4 op_sel:[1,0,0]
	v_pk_mul_f16 v16, v7, v11 op_sel_hi:[0,1]
	v_pk_fma_f16 v17, v7, v11, v4 op_sel:[1,0,0] neg_lo:[1,0,0] neg_hi:[1,0,0]
	v_pk_fma_f16 v4, v7, v11, v4 op_sel:[1,0,0] neg_lo:[0,0,1] neg_hi:[0,0,1]
	v_pk_add_f16 v7, v15, v16 op_sel:[0,1] op_sel_hi:[1,0]
	v_pk_add_f16 v11, v15, v16 op_sel:[0,1] op_sel_hi:[1,0] neg_lo:[0,1] neg_hi:[0,1]
	v_pk_add_f16 v15, v17, v16 op_sel:[0,1] op_sel_hi:[1,0] neg_lo:[0,1] neg_hi:[0,1]
	v_pk_add_f16 v4, v4, v16 op_sel:[0,1] op_sel_hi:[1,0] neg_lo:[0,1] neg_hi:[0,1]
	v_bfi_b32 v7, 0xffff, v7, v11
	v_bfi_b32 v4, 0xffff, v15, v4
	ds_write_b32 v31, v7
	ds_write_b32 v14, v4 offset:1280
	ds_read_b32 v4, v30
	ds_read_b32 v7, v14 offset:1152
	s_waitcnt lgkmcnt(0)
	v_pk_add_f16 v11, v4, v7 neg_lo:[0,1] neg_hi:[0,1]
	v_pk_add_f16 v4, v4, v7
	v_bfi_b32 v7, 0xffff, v11, v4
	v_bfi_b32 v4, 0xffff, v4, v11
	v_pk_mul_f16 v7, v7, 0.5 op_sel_hi:[1,0]
	v_pk_mul_f16 v4, v4, 0.5 op_sel_hi:[1,0]
	s_waitcnt vmcnt(2)
	v_pk_mul_f16 v15, v13, v7 op_sel_hi:[0,1]
	v_pk_fma_f16 v11, v13, v7, v4 op_sel:[1,0,0]
	v_pk_fma_f16 v16, v13, v7, v4 op_sel:[1,0,0] neg_lo:[1,0,0] neg_hi:[1,0,0]
	v_pk_fma_f16 v4, v13, v7, v4 op_sel:[1,0,0] neg_lo:[0,0,1] neg_hi:[0,0,1]
	v_pk_add_f16 v7, v11, v15 op_sel:[0,1] op_sel_hi:[1,0]
	v_pk_add_f16 v11, v11, v15 op_sel:[0,1] op_sel_hi:[1,0] neg_lo:[0,1] neg_hi:[0,1]
	v_pk_add_f16 v13, v16, v15 op_sel:[0,1] op_sel_hi:[1,0] neg_lo:[0,1] neg_hi:[0,1]
	v_pk_add_f16 v4, v4, v15 op_sel:[0,1] op_sel_hi:[1,0] neg_lo:[0,1] neg_hi:[0,1]
	v_bfi_b32 v7, 0xffff, v7, v11
	v_bfi_b32 v4, 0xffff, v13, v4
	ds_write_b32 v30, v7
	ds_write_b32 v14, v4 offset:1152
	ds_read_b32 v4, v29
	ds_read_b32 v7, v14 offset:1024
	s_waitcnt lgkmcnt(0)
	v_pk_add_f16 v11, v4, v7 neg_lo:[0,1] neg_hi:[0,1]
	v_pk_add_f16 v4, v4, v7
	v_bfi_b32 v7, 0xffff, v11, v4
	v_bfi_b32 v4, 0xffff, v4, v11
	v_pk_mul_f16 v7, v7, 0.5 op_sel_hi:[1,0]
	v_pk_mul_f16 v4, v4, 0.5 op_sel_hi:[1,0]
	s_waitcnt vmcnt(1)
	v_pk_mul_f16 v13, v12, v7 op_sel_hi:[0,1]
	v_pk_fma_f16 v11, v12, v7, v4 op_sel:[1,0,0]
	;; [unrolled: 22-line block ×3, first 2 shown]
	v_pk_fma_f16 v13, v10, v7, v4 op_sel:[1,0,0] neg_lo:[1,0,0] neg_hi:[1,0,0]
	v_pk_fma_f16 v4, v10, v7, v4 op_sel:[1,0,0] neg_lo:[0,0,1] neg_hi:[0,0,1]
	v_pk_add_f16 v7, v11, v12 op_sel:[0,1] op_sel_hi:[1,0]
	v_pk_add_f16 v10, v11, v12 op_sel:[0,1] op_sel_hi:[1,0] neg_lo:[0,1] neg_hi:[0,1]
	v_pk_add_f16 v11, v13, v12 op_sel:[0,1] op_sel_hi:[1,0] neg_lo:[0,1] neg_hi:[0,1]
	;; [unrolled: 1-line block ×3, first 2 shown]
	v_bfi_b32 v7, 0xffff, v7, v10
	v_bfi_b32 v4, 0xffff, v11, v4
	ds_write_b32 v28, v7
	ds_write_b32 v14, v4 offset:896
	v_cmpx_gt_u32_e32 0xb0, v9
	s_cbranch_execz .LBB0_27
; %bb.26:
	v_mov_b32_e32 v10, v8
	v_lshlrev_b64 v[7:8], 2, v[9:10]
	v_add_co_u32 v7, s0, s12, v7
	v_add_co_ci_u32_e64 v8, s0, s13, v8, s0
	global_load_dword v4, v[7:8], off offset:1364
	v_lshl_add_u32 v7, v9, 2, v0
	ds_read_b32 v8, v7
	ds_read_b32 v9, v14 offset:768
	s_waitcnt lgkmcnt(0)
	v_pk_add_f16 v10, v8, v9 neg_lo:[0,1] neg_hi:[0,1]
	v_pk_add_f16 v8, v8, v9
	v_bfi_b32 v9, 0xffff, v10, v8
	v_bfi_b32 v8, 0xffff, v8, v10
	v_pk_mul_f16 v9, v9, 0.5 op_sel_hi:[1,0]
	v_pk_mul_f16 v8, v8, 0.5 op_sel_hi:[1,0]
	s_waitcnt vmcnt(0)
	v_pk_fma_f16 v10, v4, v9, v8 op_sel:[1,0,0]
	v_pk_mul_f16 v11, v4, v9 op_sel_hi:[0,1]
	v_pk_fma_f16 v12, v4, v9, v8 op_sel:[1,0,0] neg_lo:[1,0,0] neg_hi:[1,0,0]
	v_pk_fma_f16 v4, v4, v9, v8 op_sel:[1,0,0] neg_lo:[0,0,1] neg_hi:[0,0,1]
	v_pk_add_f16 v8, v10, v11 op_sel:[0,1] op_sel_hi:[1,0]
	v_pk_add_f16 v9, v10, v11 op_sel:[0,1] op_sel_hi:[1,0] neg_lo:[0,1] neg_hi:[0,1]
	v_pk_add_f16 v10, v12, v11 op_sel:[0,1] op_sel_hi:[1,0] neg_lo:[0,1] neg_hi:[0,1]
	;; [unrolled: 1-line block ×3, first 2 shown]
	v_bfi_b32 v8, 0xffff, v8, v9
	v_bfi_b32 v4, 0xffff, v10, v4
	ds_write_b32 v7, v8
	ds_write_b32 v14, v4 offset:768
.LBB0_27:
	s_or_b32 exec_lo, exec_lo, s1
	s_waitcnt lgkmcnt(0)
	s_barrier
	buffer_gl0_inv
	s_and_saveexec_b32 s0, vcc_lo
	s_cbranch_execz .LBB0_30
; %bb.28:
	v_mul_lo_u32 v8, s3, v5
	v_mul_lo_u32 v9, s2, v6
	v_mad_u64_u32 v[6:7], null, s2, v5, 0
	v_lshl_add_u32 v5, v3, 2, v0
	v_mov_b32_e32 v4, 0
	v_lshlrev_b64 v[0:1], 2, v[1:2]
	v_add_nc_u32_e32 v10, 64, v3
	v_add_nc_u32_e32 v20, 0xe0, v3
	ds_read2_b32 v[12:13], v5 offset1:32
	v_add3_u32 v7, v7, v9, v8
	v_add_nc_u32_e32 v8, 32, v3
	v_mov_b32_e32 v9, v4
	ds_read2_b32 v[16:17], v5 offset0:64 offset1:96
	v_lshlrev_b64 v[14:15], 2, v[3:4]
	v_lshlrev_b64 v[6:7], 2, v[6:7]
	v_mov_b32_e32 v11, v4
	v_mov_b32_e32 v21, v4
	v_add_co_u32 v2, vcc_lo, s10, v6
	v_add_co_ci_u32_e32 v18, vcc_lo, s11, v7, vcc_lo
	v_lshlrev_b64 v[6:7], 2, v[8:9]
	v_add_co_u32 v0, vcc_lo, v2, v0
	v_add_co_ci_u32_e32 v1, vcc_lo, v18, v1, vcc_lo
	v_lshlrev_b64 v[8:9], 2, v[10:11]
	v_add_co_u32 v10, vcc_lo, v0, v14
	v_add_co_ci_u32_e32 v11, vcc_lo, v1, v15, vcc_lo
	v_add_co_u32 v6, vcc_lo, v0, v6
	v_add_co_ci_u32_e32 v7, vcc_lo, v1, v7, vcc_lo
	;; [unrolled: 2-line block ×3, first 2 shown]
	v_add_nc_u32_e32 v14, 0x60, v3
	v_mov_b32_e32 v15, v4
	s_waitcnt lgkmcnt(1)
	global_store_dword v[10:11], v12, off
	global_store_dword v[6:7], v13, off
	s_waitcnt lgkmcnt(0)
	global_store_dword v[8:9], v16, off
	v_add_nc_u32_e32 v8, 0x80, v3
	v_mov_b32_e32 v9, v4
	ds_read2_b32 v[12:13], v5 offset0:128 offset1:160
	v_lshlrev_b64 v[6:7], 2, v[14:15]
	v_add_nc_u32_e32 v10, 0xa0, v3
	v_mov_b32_e32 v11, v4
	ds_read2_b32 v[18:19], v5 offset0:192 offset1:224
	v_lshlrev_b64 v[8:9], 2, v[8:9]
	v_add_nc_u32_e32 v14, 0xc0, v3
	v_add_co_u32 v6, vcc_lo, v0, v6
	v_lshlrev_b64 v[10:11], 2, v[10:11]
	v_add_co_ci_u32_e32 v7, vcc_lo, v1, v7, vcc_lo
	v_add_co_u32 v8, vcc_lo, v0, v8
	v_lshlrev_b64 v[14:15], 2, v[14:15]
	v_add_co_ci_u32_e32 v9, vcc_lo, v1, v9, vcc_lo
	v_add_co_u32 v10, vcc_lo, v0, v10
	v_add_co_ci_u32_e32 v11, vcc_lo, v1, v11, vcc_lo
	v_add_co_u32 v14, vcc_lo, v0, v14
	v_add_co_ci_u32_e32 v15, vcc_lo, v1, v15, vcc_lo
	global_store_dword v[6:7], v17, off
	s_waitcnt lgkmcnt(1)
	global_store_dword v[8:9], v12, off
	global_store_dword v[10:11], v13, off
	s_waitcnt lgkmcnt(0)
	global_store_dword v[14:15], v18, off
	v_add_nc_u32_e32 v8, 0x100, v3
	v_mov_b32_e32 v9, v4
	v_add_nc_u32_e32 v2, 0x400, v5
	v_lshlrev_b64 v[6:7], 2, v[20:21]
	v_add_nc_u32_e32 v10, 0x120, v3
	v_mov_b32_e32 v11, v4
	v_lshlrev_b64 v[8:9], 2, v[8:9]
	ds_read2_b32 v[12:13], v2 offset1:32
	v_add_nc_u32_e32 v14, 0x140, v3
	v_mov_b32_e32 v15, v4
	v_add_co_u32 v6, vcc_lo, v0, v6
	v_lshlrev_b64 v[10:11], 2, v[10:11]
	ds_read_b32 v2, v5 offset:1280
	v_add_co_ci_u32_e32 v7, vcc_lo, v1, v7, vcc_lo
	v_add_co_u32 v8, vcc_lo, v0, v8
	v_lshlrev_b64 v[14:15], 2, v[14:15]
	v_add_co_ci_u32_e32 v9, vcc_lo, v1, v9, vcc_lo
	v_add_co_u32 v10, vcc_lo, v0, v10
	v_add_co_ci_u32_e32 v11, vcc_lo, v1, v11, vcc_lo
	v_add_co_u32 v14, vcc_lo, v0, v14
	v_add_co_ci_u32_e32 v15, vcc_lo, v1, v15, vcc_lo
	v_cmp_eq_u32_e32 vcc_lo, 31, v3
	global_store_dword v[6:7], v19, off
	s_waitcnt lgkmcnt(1)
	global_store_dword v[8:9], v12, off
	global_store_dword v[10:11], v13, off
	s_waitcnt lgkmcnt(0)
	global_store_dword v[14:15], v2, off
	s_and_b32 exec_lo, exec_lo, vcc_lo
	s_cbranch_execz .LBB0_30
; %bb.29:
	ds_read_b32 v2, v5 offset:1284
	s_waitcnt lgkmcnt(0)
	global_store_dword v[0:1], v2, off offset:1408
.LBB0_30:
	s_endpgm
	.section	.rodata,"a",@progbits
	.p2align	6, 0x0
	.amdhsa_kernel fft_rtc_fwd_len352_factors_11_2_16_wgs_64_tpt_32_half_op_CI_CI_unitstride_sbrr_R2C_dirReg
		.amdhsa_group_segment_fixed_size 0
		.amdhsa_private_segment_fixed_size 0
		.amdhsa_kernarg_size 104
		.amdhsa_user_sgpr_count 6
		.amdhsa_user_sgpr_private_segment_buffer 1
		.amdhsa_user_sgpr_dispatch_ptr 0
		.amdhsa_user_sgpr_queue_ptr 0
		.amdhsa_user_sgpr_kernarg_segment_ptr 1
		.amdhsa_user_sgpr_dispatch_id 0
		.amdhsa_user_sgpr_flat_scratch_init 0
		.amdhsa_user_sgpr_private_segment_size 0
		.amdhsa_wavefront_size32 1
		.amdhsa_uses_dynamic_stack 0
		.amdhsa_system_sgpr_private_segment_wavefront_offset 0
		.amdhsa_system_sgpr_workgroup_id_x 1
		.amdhsa_system_sgpr_workgroup_id_y 0
		.amdhsa_system_sgpr_workgroup_id_z 0
		.amdhsa_system_sgpr_workgroup_info 0
		.amdhsa_system_vgpr_workitem_id 0
		.amdhsa_next_free_vgpr 90
		.amdhsa_next_free_sgpr 27
		.amdhsa_reserve_vcc 1
		.amdhsa_reserve_flat_scratch 0
		.amdhsa_float_round_mode_32 0
		.amdhsa_float_round_mode_16_64 0
		.amdhsa_float_denorm_mode_32 3
		.amdhsa_float_denorm_mode_16_64 3
		.amdhsa_dx10_clamp 1
		.amdhsa_ieee_mode 1
		.amdhsa_fp16_overflow 0
		.amdhsa_workgroup_processor_mode 1
		.amdhsa_memory_ordered 1
		.amdhsa_forward_progress 0
		.amdhsa_shared_vgpr_count 0
		.amdhsa_exception_fp_ieee_invalid_op 0
		.amdhsa_exception_fp_denorm_src 0
		.amdhsa_exception_fp_ieee_div_zero 0
		.amdhsa_exception_fp_ieee_overflow 0
		.amdhsa_exception_fp_ieee_underflow 0
		.amdhsa_exception_fp_ieee_inexact 0
		.amdhsa_exception_int_div_zero 0
	.end_amdhsa_kernel
	.text
.Lfunc_end0:
	.size	fft_rtc_fwd_len352_factors_11_2_16_wgs_64_tpt_32_half_op_CI_CI_unitstride_sbrr_R2C_dirReg, .Lfunc_end0-fft_rtc_fwd_len352_factors_11_2_16_wgs_64_tpt_32_half_op_CI_CI_unitstride_sbrr_R2C_dirReg
                                        ; -- End function
	.section	.AMDGPU.csdata,"",@progbits
; Kernel info:
; codeLenInByte = 9408
; NumSgprs: 29
; NumVgprs: 90
; ScratchSize: 0
; MemoryBound: 0
; FloatMode: 240
; IeeeMode: 1
; LDSByteSize: 0 bytes/workgroup (compile time only)
; SGPRBlocks: 3
; VGPRBlocks: 11
; NumSGPRsForWavesPerEU: 29
; NumVGPRsForWavesPerEU: 90
; Occupancy: 10
; WaveLimiterHint : 1
; COMPUTE_PGM_RSRC2:SCRATCH_EN: 0
; COMPUTE_PGM_RSRC2:USER_SGPR: 6
; COMPUTE_PGM_RSRC2:TRAP_HANDLER: 0
; COMPUTE_PGM_RSRC2:TGID_X_EN: 1
; COMPUTE_PGM_RSRC2:TGID_Y_EN: 0
; COMPUTE_PGM_RSRC2:TGID_Z_EN: 0
; COMPUTE_PGM_RSRC2:TIDIG_COMP_CNT: 0
	.text
	.p2alignl 6, 3214868480
	.fill 48, 4, 3214868480
	.type	__hip_cuid_8e00454b1ebaabb9,@object ; @__hip_cuid_8e00454b1ebaabb9
	.section	.bss,"aw",@nobits
	.globl	__hip_cuid_8e00454b1ebaabb9
__hip_cuid_8e00454b1ebaabb9:
	.byte	0                               ; 0x0
	.size	__hip_cuid_8e00454b1ebaabb9, 1

	.ident	"AMD clang version 19.0.0git (https://github.com/RadeonOpenCompute/llvm-project roc-6.4.0 25133 c7fe45cf4b819c5991fe208aaa96edf142730f1d)"
	.section	".note.GNU-stack","",@progbits
	.addrsig
	.addrsig_sym __hip_cuid_8e00454b1ebaabb9
	.amdgpu_metadata
---
amdhsa.kernels:
  - .args:
      - .actual_access:  read_only
        .address_space:  global
        .offset:         0
        .size:           8
        .value_kind:     global_buffer
      - .offset:         8
        .size:           8
        .value_kind:     by_value
      - .actual_access:  read_only
        .address_space:  global
        .offset:         16
        .size:           8
        .value_kind:     global_buffer
      - .actual_access:  read_only
        .address_space:  global
        .offset:         24
        .size:           8
        .value_kind:     global_buffer
      - .actual_access:  read_only
        .address_space:  global
        .offset:         32
        .size:           8
        .value_kind:     global_buffer
      - .offset:         40
        .size:           8
        .value_kind:     by_value
      - .actual_access:  read_only
        .address_space:  global
        .offset:         48
        .size:           8
        .value_kind:     global_buffer
      - .actual_access:  read_only
        .address_space:  global
        .offset:         56
        .size:           8
        .value_kind:     global_buffer
      - .offset:         64
        .size:           4
        .value_kind:     by_value
      - .actual_access:  read_only
        .address_space:  global
        .offset:         72
        .size:           8
        .value_kind:     global_buffer
      - .actual_access:  read_only
        .address_space:  global
        .offset:         80
        .size:           8
        .value_kind:     global_buffer
      - .actual_access:  read_only
        .address_space:  global
        .offset:         88
        .size:           8
        .value_kind:     global_buffer
      - .actual_access:  write_only
        .address_space:  global
        .offset:         96
        .size:           8
        .value_kind:     global_buffer
    .group_segment_fixed_size: 0
    .kernarg_segment_align: 8
    .kernarg_segment_size: 104
    .language:       OpenCL C
    .language_version:
      - 2
      - 0
    .max_flat_workgroup_size: 64
    .name:           fft_rtc_fwd_len352_factors_11_2_16_wgs_64_tpt_32_half_op_CI_CI_unitstride_sbrr_R2C_dirReg
    .private_segment_fixed_size: 0
    .sgpr_count:     29
    .sgpr_spill_count: 0
    .symbol:         fft_rtc_fwd_len352_factors_11_2_16_wgs_64_tpt_32_half_op_CI_CI_unitstride_sbrr_R2C_dirReg.kd
    .uniform_work_group_size: 1
    .uses_dynamic_stack: false
    .vgpr_count:     90
    .vgpr_spill_count: 0
    .wavefront_size: 32
    .workgroup_processor_mode: 1
amdhsa.target:   amdgcn-amd-amdhsa--gfx1030
amdhsa.version:
  - 1
  - 2
...

	.end_amdgpu_metadata
